;; amdgpu-corpus repo=ROCm/rocFFT kind=compiled arch=gfx950 opt=O3
	.text
	.amdgcn_target "amdgcn-amd-amdhsa--gfx950"
	.amdhsa_code_object_version 6
	.protected	bluestein_single_back_len180_dim1_sp_op_CI_CI ; -- Begin function bluestein_single_back_len180_dim1_sp_op_CI_CI
	.globl	bluestein_single_back_len180_dim1_sp_op_CI_CI
	.p2align	8
	.type	bluestein_single_back_len180_dim1_sp_op_CI_CI,@function
bluestein_single_back_len180_dim1_sp_op_CI_CI: ; @bluestein_single_back_len180_dim1_sp_op_CI_CI
; %bb.0:
	s_load_dwordx4 s[8:11], s[0:1], 0x28
	v_mul_u32_u24_e32 v1, 0x445, v0
	v_lshrrev_b32_e32 v1, 16, v1
	v_lshl_add_u32 v36, s2, 2, v1
	v_mov_b32_e32 v37, 0
	s_waitcnt lgkmcnt(0)
	v_cmp_gt_u64_e32 vcc, s[8:9], v[36:37]
	s_and_saveexec_b64 s[2:3], vcc
	s_cbranch_execz .LBB0_23
; %bb.1:
	s_load_dwordx2 s[2:3], s[0:1], 0x0
	s_load_dwordx2 s[8:9], s[0:1], 0x38
	v_mul_lo_u16_e32 v2, 60, v1
	v_sub_u16_e32 v37, v0, v2
	v_and_b32_e32 v0, 3, v1
	v_mul_u32_u24_e32 v45, 0xb4, v0
	v_cmp_gt_u16_e32 vcc, 18, v37
	v_lshlrev_b32_e32 v44, 3, v37
	v_lshlrev_b32_e32 v46, 3, v45
	s_and_saveexec_b64 s[12:13], vcc
	s_cbranch_execz .LBB0_3
; %bb.2:
	s_load_dwordx2 s[4:5], s[0:1], 0x18
	v_mov_b32_e32 v0, s10
	v_mov_b32_e32 v1, s11
	;; [unrolled: 1-line block ×3, first 2 shown]
	v_lshl_add_u32 v47, v37, 3, v46
	s_waitcnt lgkmcnt(0)
	s_load_dwordx4 s[4:7], s[4:5], 0x0
	v_add_u32_e32 v48, v46, v44
	s_waitcnt lgkmcnt(0)
	v_mad_u64_u32 v[2:3], s[10:11], s6, v36, 0
	v_mad_u64_u32 v[4:5], s[10:11], s4, v37, 0
	v_mov_b32_e32 v6, v3
	v_mov_b32_e32 v8, v5
	v_mad_u64_u32 v[6:7], s[6:7], s7, v36, v[6:7]
	v_mov_b32_e32 v3, v6
	v_mad_u64_u32 v[6:7], s[6:7], s5, v37, v[8:9]
	v_mov_b32_e32 v5, v6
	v_lshl_add_u64 v[0:1], v[2:3], 3, v[0:1]
	v_lshl_add_u64 v[0:1], v[4:5], 3, v[0:1]
	global_load_dwordx2 v[2:3], v[0:1], off
	global_load_dwordx2 v[4:5], v44, s[2:3]
	v_mad_u64_u32 v[0:1], s[6:7], s4, v40, v[0:1]
	s_mul_i32 s10, s5, 0x90
	v_add_u32_e32 v1, s10, v1
	v_mad_u64_u32 v[6:7], s[6:7], s4, v40, v[0:1]
	v_add_u32_e32 v7, s10, v7
	global_load_dwordx2 v[8:9], v[0:1], off
	global_load_dwordx2 v[10:11], v[6:7], off
	global_load_dwordx2 v[12:13], v44, s[2:3] offset:144
	v_mad_u64_u32 v[0:1], s[6:7], s4, v40, v[6:7]
	v_add_u32_e32 v1, s10, v1
	v_mad_u64_u32 v[16:17], s[6:7], s4, v40, v[0:1]
	v_add_u32_e32 v17, s10, v17
	global_load_dwordx2 v[6:7], v44, s[2:3] offset:288
	global_load_dwordx2 v[14:15], v44, s[2:3] offset:432
	global_load_dwordx2 v[18:19], v[0:1], off
	global_load_dwordx2 v[20:21], v[16:17], off
	v_mad_u64_u32 v[0:1], s[6:7], s4, v40, v[16:17]
	v_add_u32_e32 v1, s10, v1
	global_load_dwordx2 v[22:23], v[0:1], off
	v_mad_u64_u32 v[0:1], s[6:7], s4, v40, v[0:1]
	v_add_u32_e32 v1, s10, v1
	global_load_dwordx2 v[16:17], v44, s[2:3] offset:576
	global_load_dwordx2 v[24:25], v44, s[2:3] offset:720
	global_load_dwordx2 v[26:27], v[0:1], off
	global_load_dwordx2 v[28:29], v44, s[2:3] offset:864
	v_mad_u64_u32 v[0:1], s[6:7], s4, v40, v[0:1]
	v_add_u32_e32 v1, s10, v1
	global_load_dwordx2 v[30:31], v[0:1], off
	global_load_dwordx2 v[32:33], v44, s[2:3] offset:1008
	v_mad_u64_u32 v[0:1], s[6:7], s4, v40, v[0:1]
	v_add_u32_e32 v1, s10, v1
	;; [unrolled: 4-line block ×3, first 2 shown]
	global_load_dwordx2 v[40:41], v44, s[2:3] offset:1296
	global_load_dwordx2 v[42:43], v[0:1], off
	s_waitcnt vmcnt(18)
	v_mul_f32_e32 v0, v3, v5
	v_mul_f32_e32 v1, v2, v5
	v_fmac_f32_e32 v0, v2, v4
	v_fma_f32 v1, v3, v4, -v1
	ds_write_b64 v47, v[0:1]
	s_waitcnt vmcnt(15)
	v_mul_f32_e32 v0, v9, v13
	v_mul_f32_e32 v1, v8, v13
	v_fmac_f32_e32 v0, v8, v12
	v_fma_f32 v1, v9, v12, -v1
	s_waitcnt vmcnt(14)
	v_mul_f32_e32 v2, v11, v7
	v_mul_f32_e32 v3, v10, v7
	v_fmac_f32_e32 v2, v10, v6
	v_fma_f32 v3, v11, v6, -v3
	ds_write2_b64 v48, v[0:1], v[2:3] offset0:18 offset1:36
	s_waitcnt vmcnt(12)
	v_mul_f32_e32 v0, v19, v15
	v_mul_f32_e32 v1, v18, v15
	v_fmac_f32_e32 v0, v18, v14
	v_fma_f32 v1, v19, v14, -v1
	s_waitcnt vmcnt(9)
	v_mul_f32_e32 v2, v21, v17
	v_mul_f32_e32 v3, v20, v17
	v_fmac_f32_e32 v2, v20, v16
	v_fma_f32 v3, v21, v16, -v3
	ds_write2_b64 v48, v[0:1], v[2:3] offset0:54 offset1:72
	s_waitcnt vmcnt(8)
	v_mul_f32_e32 v0, v23, v25
	v_mul_f32_e32 v1, v22, v25
	s_waitcnt vmcnt(6)
	v_mul_f32_e32 v2, v27, v29
	v_mul_f32_e32 v3, v26, v29
	v_fmac_f32_e32 v0, v22, v24
	v_fma_f32 v1, v23, v24, -v1
	v_fmac_f32_e32 v2, v26, v28
	v_fma_f32 v3, v27, v28, -v3
	ds_write2_b64 v48, v[0:1], v[2:3] offset0:90 offset1:108
	s_waitcnt vmcnt(4)
	v_mul_f32_e32 v0, v31, v33
	v_mul_f32_e32 v1, v30, v33
	s_waitcnt vmcnt(2)
	v_mul_f32_e32 v2, v35, v39
	v_mul_f32_e32 v3, v34, v39
	v_fmac_f32_e32 v0, v30, v32
	v_fma_f32 v1, v31, v32, -v1
	v_fmac_f32_e32 v2, v34, v38
	v_fma_f32 v3, v35, v38, -v3
	ds_write2_b64 v48, v[0:1], v[2:3] offset0:126 offset1:144
	s_waitcnt vmcnt(0)
	v_mul_f32_e32 v0, v43, v41
	v_mul_f32_e32 v1, v42, v41
	v_fmac_f32_e32 v0, v42, v40
	v_fma_f32 v1, v43, v40, -v1
	ds_write_b64 v48, v[0:1] offset:1296
.LBB0_3:
	s_or_b64 exec, exec, s[12:13]
	s_waitcnt lgkmcnt(0)
	s_barrier
	s_waitcnt lgkmcnt(0)
                                        ; implicit-def: $vgpr12
                                        ; implicit-def: $vgpr0
                                        ; implicit-def: $vgpr4
                                        ; implicit-def: $vgpr8
                                        ; implicit-def: $vgpr16
	s_and_saveexec_b64 s[4:5], vcc
	s_cbranch_execz .LBB0_5
; %bb.4:
	v_lshl_add_u32 v16, v45, 3, v44
	ds_read2_b64 v[12:15], v16 offset1:18
	ds_read2_b64 v[0:3], v16 offset0:36 offset1:54
	ds_read2_b64 v[4:7], v16 offset0:72 offset1:90
	;; [unrolled: 1-line block ×4, first 2 shown]
.LBB0_5:
	s_or_b64 exec, exec, s[4:5]
	s_waitcnt lgkmcnt(2)
	v_pk_add_f32 v[22:23], v[0:1], v[4:5] neg_lo:[0,1] neg_hi:[0,1]
	s_waitcnt lgkmcnt(0)
	v_pk_add_f32 v[24:25], v[16:17], v[8:9] neg_lo:[0,1] neg_hi:[0,1]
	s_mov_b32 s4, 0x3f737871
	v_pk_add_f32 v[22:23], v[22:23], v[24:25]
	v_pk_add_f32 v[24:25], v[4:5], v[8:9]
	v_pk_add_f32 v[26:27], v[0:1], v[16:17] neg_lo:[0,1] neg_hi:[0,1]
	s_mov_b32 s5, 0xbf737871
	v_pk_fma_f32 v[24:25], v[24:25], 0.5, v[12:13] op_sel_hi:[1,0,1] neg_lo:[1,0,0] neg_hi:[1,0,0]
	v_pk_mul_f32 v[28:29], v[26:27], s[4:5] op_sel_hi:[1,0]
	v_pk_add_f32 v[20:21], v[12:13], v[0:1]
	v_pk_add_f32 v[30:31], v[24:25], v[28:29] op_sel:[0,1] op_sel_hi:[1,0]
	v_pk_add_f32 v[24:25], v[24:25], v[28:29] op_sel:[0,1] op_sel_hi:[1,0] neg_lo:[0,1] neg_hi:[0,1]
	v_pk_add_f32 v[28:29], v[4:5], v[0:1] neg_lo:[0,1] neg_hi:[0,1]
	v_pk_add_f32 v[34:35], v[4:5], v[8:9] neg_lo:[0,1] neg_hi:[0,1]
	v_pk_add_f32 v[0:1], v[0:1], v[16:17]
	v_pk_add_f32 v[4:5], v[20:21], v[4:5]
	v_pk_fma_f32 v[0:1], v[0:1], 0.5, v[12:13] op_sel_hi:[1,0,1] neg_lo:[1,0,0] neg_hi:[1,0,0]
	v_pk_mul_f32 v[12:13], v[34:35], s[4:5] op_sel_hi:[1,0]
	v_pk_add_f32 v[32:33], v[8:9], v[16:17] neg_lo:[0,1] neg_hi:[0,1]
	v_pk_add_f32 v[38:39], v[0:1], v[12:13] op_sel:[0,1] op_sel_hi:[1,0] neg_lo:[0,1] neg_hi:[0,1]
	v_pk_add_f32 v[0:1], v[12:13], v[0:1] op_sel:[1,0] op_sel_hi:[0,1]
	v_pk_add_f32 v[12:13], v[14:15], v[2:3]
	v_pk_add_f32 v[4:5], v[4:5], v[8:9]
	;; [unrolled: 1-line block ×6, first 2 shown]
	v_pk_add_f32 v[20:21], v[2:3], v[18:19] neg_lo:[0,1] neg_hi:[0,1]
	v_pk_fma_f32 v[42:43], v[42:43], 0.5, v[14:15] op_sel_hi:[1,0,1] neg_lo:[1,0,0] neg_hi:[1,0,0]
	v_pk_fma_f32 v[14:15], v[52:53], 0.5, v[14:15] op_sel_hi:[1,0,1] neg_lo:[1,0,0] neg_hi:[1,0,0]
	v_pk_add_f32 v[4:5], v[4:5], v[16:17]
	v_pk_add_f32 v[12:13], v[8:9], v[18:19]
	v_pk_add_f32 v[8:9], v[2:3], v[6:7] neg_lo:[0,1] neg_hi:[0,1]
	v_pk_add_f32 v[16:17], v[18:19], v[10:11] neg_lo:[0,1] neg_hi:[0,1]
	;; [unrolled: 1-line block ×3, first 2 shown]
	s_mov_b32 s12, 0x3f167918
	v_pk_fma_f32 v[52:53], v[20:21], s[4:5], v[14:15] op_sel:[0,0,1] op_sel_hi:[1,0,0]
	v_pk_add_f32 v[8:9], v[8:9], v[16:17]
	s_mov_b32 s6, 0x3e9e377a
	v_pk_fma_f32 v[52:53], v[40:41], s[12:13], v[52:53] op_sel_hi:[1,0,1]
	v_pk_mul_f32 v[16:17], v[8:9], s[6:7] op_sel_hi:[1,0]
	v_mov_b32_e32 v54, v53
	v_pk_fma_f32 v[14:15], v[20:21], s[4:5], v[14:15] op_sel:[0,0,1] op_sel_hi:[1,0,0] neg_lo:[1,0,0] neg_hi:[1,0,0]
	v_pk_mul_f32 v[48:49], v[40:41], s[4:5] op_sel_hi:[1,0]
	v_pk_fma_f32 v[54:55], v[8:9], s[6:7], v[54:55] op_sel_hi:[1,0,1]
	v_pk_mul_f32 v[8:9], v[20:21], s[12:13] op_sel_hi:[1,0]
	v_pk_fma_f32 v[14:15], v[40:41], s[12:13], v[14:15] op_sel_hi:[1,0,1] neg_lo:[1,0,0] neg_hi:[1,0,0]
	v_mov_b32_e32 v20, v17
	v_pk_add_f32 v[50:51], v[48:49], v[42:43] op_sel:[1,0] op_sel_hi:[0,1]
	v_pk_add_f32 v[20:21], v[20:21], v[14:15]
	v_mov_b32_e32 v53, v15
	v_pk_add_f32 v[14:15], v[42:43], v[48:49] op_sel:[0,1] op_sel_hi:[1,0] neg_lo:[0,1] neg_hi:[0,1]
	v_pk_add_f32 v[2:3], v[6:7], v[2:3] neg_lo:[0,1] neg_hi:[0,1]
	v_pk_add_f32 v[6:7], v[10:11], v[18:19] neg_lo:[0,1] neg_hi:[0,1]
	v_pk_mul_f32 v[10:11], v[34:35], s[12:13] op_sel_hi:[1,0]
	v_pk_add_f32 v[50:51], v[50:51], v[8:9] op_sel:[0,1] op_sel_hi:[1,0] neg_lo:[0,1] neg_hi:[0,1]
	v_pk_add_f32 v[14:15], v[8:9], v[14:15] op_sel:[1,0] op_sel_hi:[0,1]
	v_pk_add_f32 v[2:3], v[2:3], v[6:7]
	v_pk_add_f32 v[18:19], v[10:11], v[30:31] op_sel:[1,0] op_sel_hi:[0,1]
	v_pk_mul_f32 v[26:27], v[26:27], s[12:13] op_sel_hi:[1,0]
	v_pk_add_f32 v[10:11], v[24:25], v[10:11] op_sel:[0,1] op_sel_hi:[1,0] neg_lo:[0,1] neg_hi:[0,1]
	v_mov_b32_e32 v8, v14
	v_pk_mul_f32 v[6:7], v[2:3], s[6:7] op_sel_hi:[1,0]
	v_pk_add_f32 v[30:31], v[26:27], v[38:39] op_sel:[1,0] op_sel_hi:[0,1]
	v_mov_b32_e32 v24, v18
	v_mov_b32_e32 v25, v11
	;; [unrolled: 1-line block ×3, first 2 shown]
	v_pk_add_f32 v[0:1], v[0:1], v[26:27] op_sel:[0,1] op_sel_hi:[1,0] neg_lo:[0,1] neg_hi:[0,1]
	v_mov_b32_e32 v14, v15
	v_mov_b32_e32 v15, v50
	s_mov_b32 s14, 0x3f4f1bbd
	s_mov_b32 s15, s12
	v_mov_b32_e32 v9, v51
	v_pk_fma_f32 v[34:35], v[22:23], s[6:7], v[24:25] op_sel_hi:[1,0,1]
	v_pk_fma_f32 v[18:19], v[22:23], s[6:7], v[10:11] op_sel_hi:[1,0,1]
	v_pk_add_f32 v[10:11], v[28:29], v[32:33]
	v_mov_b32_e32 v22, v30
	v_mov_b32_e32 v23, v1
	;; [unrolled: 1-line block ×3, first 2 shown]
	v_pk_add_f32 v[6:7], v[6:7], v[14:15] op_sel:[1,0] op_sel_hi:[0,1]
	v_pk_mul_f32 v[14:15], v[54:55], s[14:15] op_sel_hi:[0,1]
	s_mov_b32 s13, s14
	v_pk_fma_f32 v[2:3], v[2:3], s[6:7], v[8:9] op_sel_hi:[1,0,1]
	v_pk_fma_f32 v[28:29], v[10:11], s[6:7], v[22:23] op_sel_hi:[1,0,1]
	;; [unrolled: 1-line block ×3, first 2 shown]
	v_pk_add_f32 v[10:11], v[16:17], v[52:53] op_sel:[1,0] op_sel_hi:[0,1]
	v_pk_fma_f32 v[16:17], v[20:21], s[12:13], v[14:15]
	v_pk_fma_f32 v[14:15], v[20:21], s[12:13], v[14:15] op_sel_hi:[0,1,1] neg_lo:[0,0,1] neg_hi:[0,0,1]
	v_mov_b32_e32 v17, v15
	v_pk_mul_f32 v[14:15], v[2:3], s[4:5] op_sel_hi:[1,0]
	s_load_dwordx2 s[10:11], s[0:1], 0x8
	v_pk_fma_f32 v[30:31], v[2:3], s[6:7], v[14:15] op_sel:[0,0,1] op_sel_hi:[1,0,0]
	v_pk_fma_f32 v[2:3], v[2:3], s[6:7], v[14:15] op_sel:[0,0,1] op_sel_hi:[1,0,0] neg_lo:[0,0,1] neg_hi:[0,0,1]
	s_mov_b32 s13, 0xbf167918
	v_mov_b32_e32 v31, v3
	v_pk_mul_f32 v[2:3], v[6:7], s[6:7] op_sel_hi:[1,0]
	v_pk_add_f32 v[8:9], v[4:5], v[12:13]
	v_pk_fma_f32 v[2:3], v[6:7], s[4:5], v[2:3] op_sel:[0,0,1] op_sel_hi:[1,1,0] neg_lo:[0,0,1] neg_hi:[0,0,1]
	v_pk_mul_f32 v[6:7], v[10:11], s[14:15] op_sel_hi:[1,0]
	v_pk_add_f32 v[20:21], v[28:29], v[30:31]
	v_pk_fma_f32 v[6:7], v[10:11], s[12:13], v[6:7] op_sel:[0,0,1] op_sel_hi:[1,1,0] neg_lo:[0,0,1] neg_hi:[0,0,1]
	v_pk_add_f32 v[10:11], v[34:35], v[16:17]
	v_pk_add_f32 v[22:23], v[0:1], v[2:3]
	;; [unrolled: 1-line block ×3, first 2 shown]
	v_pk_add_f32 v[26:27], v[4:5], v[12:13] neg_lo:[0,1] neg_hi:[0,1]
	v_pk_add_f32 v[12:13], v[34:35], v[16:17] neg_lo:[0,1] neg_hi:[0,1]
	;; [unrolled: 1-line block ×5, first 2 shown]
	v_mul_lo_u16_e32 v50, 10, v37
	s_waitcnt lgkmcnt(0)
	s_barrier
	s_and_saveexec_b64 s[4:5], vcc
	s_cbranch_execz .LBB0_7
; %bb.6:
	v_add_lshl_u32 v0, v45, v50, 3
	ds_write_b128 v0, v[8:11]
	ds_write_b128 v0, v[20:23] offset:16
	ds_write_b128 v0, v[24:27] offset:32
	;; [unrolled: 1-line block ×4, first 2 shown]
.LBB0_7:
	s_or_b64 exec, exec, s[4:5]
	s_load_dwordx2 s[4:5], s[0:1], 0x20
	v_cmp_gt_u16_e64 s[0:1], 30, v37
	v_add_lshl_u32 v48, v45, v37, 3
	s_waitcnt lgkmcnt(0)
	s_barrier
	s_and_saveexec_b64 s[6:7], s[0:1]
	s_cbranch_execz .LBB0_9
; %bb.8:
	ds_read2_b64 v[8:11], v48 offset1:30
	ds_read2_b64 v[20:23], v48 offset0:60 offset1:90
	ds_read2_b64 v[24:27], v48 offset0:120 offset1:150
.LBB0_9:
	s_or_b64 exec, exec, s[6:7]
	s_movk_i32 s6, 0xcd
	v_mul_lo_u16_sdwa v0, v37, s6 dst_sel:DWORD dst_unused:UNUSED_PAD src0_sel:BYTE_0 src1_sel:DWORD
	v_lshrrev_b16_e32 v47, 11, v0
	v_mul_lo_u16_e32 v0, 10, v47
	v_sub_u16_e32 v0, v37, v0
	v_and_b32_e32 v49, 0xff, v0
	v_mad_u64_u32 v[28:29], s[6:7], v49, 40, s[10:11]
	global_load_dwordx4 v[0:3], v[28:29], off
	global_load_dwordx4 v[4:7], v[28:29], off offset:16
	global_load_dwordx2 v[38:39], v[28:29], off offset:32
	s_mov_b32 s12, 0x3f5db3d7
	s_mov_b32 s6, 0xbf5db3d7
	;; [unrolled: 1-line block ×3, first 2 shown]
	v_mul_lo_u16_e32 v51, 60, v47
	s_waitcnt lgkmcnt(0)
	s_barrier
	s_waitcnt vmcnt(2)
	v_pk_mul_f32 v[28:29], v[10:11], v[0:1] op_sel:[1,0]
	v_pk_mul_f32 v[30:31], v[20:21], v[2:3] op_sel:[1,0]
	s_waitcnt vmcnt(1)
	v_pk_mul_f32 v[32:33], v[22:23], v[4:5] op_sel:[1,0]
	v_pk_mul_f32 v[34:35], v[24:25], v[6:7] op_sel:[1,0]
	s_waitcnt vmcnt(0)
	v_pk_mul_f32 v[40:41], v[26:27], v[38:39] op_sel:[1,0]
	v_pk_fma_f32 v[42:43], v[10:11], v[0:1], v[28:29] op_sel:[0,0,1] op_sel_hi:[1,1,0] neg_lo:[0,0,1] neg_hi:[0,0,1]
	v_pk_fma_f32 v[10:11], v[10:11], v[0:1], v[28:29] op_sel:[0,0,1] op_sel_hi:[0,1,0]
	v_pk_fma_f32 v[28:29], v[20:21], v[2:3], v[30:31] op_sel:[0,0,1] op_sel_hi:[1,1,0] neg_lo:[0,0,1] neg_hi:[0,0,1]
	v_pk_fma_f32 v[20:21], v[20:21], v[2:3], v[30:31] op_sel:[0,0,1] op_sel_hi:[0,1,0]
	;; [unrolled: 2-line block ×5, first 2 shown]
	v_mov_b32_e32 v43, v11
	v_mov_b32_e32 v29, v21
	;; [unrolled: 1-line block ×5, first 2 shown]
	v_pk_add_f32 v[10:11], v[8:9], v[28:29]
	v_pk_add_f32 v[20:21], v[28:29], v[32:33]
	v_pk_add_f32 v[22:23], v[28:29], v[32:33] neg_lo:[0,1] neg_hi:[0,1]
	v_pk_add_f32 v[24:25], v[42:43], v[30:31]
	v_pk_add_f32 v[26:27], v[30:31], v[34:35]
	v_pk_add_f32 v[28:29], v[30:31], v[34:35] neg_lo:[0,1] neg_hi:[0,1]
	v_pk_fma_f32 v[20:21], v[20:21], 0.5, v[8:9] op_sel_hi:[1,0,1] neg_lo:[1,0,0] neg_hi:[1,0,0]
	v_pk_add_f32 v[8:9], v[24:25], v[34:35]
	v_pk_fma_f32 v[24:25], v[26:27], 0.5, v[42:43] op_sel_hi:[1,0,1] neg_lo:[1,0,0] neg_hi:[1,0,0]
	v_pk_mul_f32 v[26:27], v[28:29], s[12:13] op_sel_hi:[1,0]
	v_pk_add_f32 v[10:11], v[10:11], v[32:33]
	v_pk_add_f32 v[32:33], v[26:27], v[24:25] op_sel:[1,0] op_sel_hi:[0,1]
	v_pk_add_f32 v[24:25], v[24:25], v[26:27] op_sel:[0,1] op_sel_hi:[1,0] neg_lo:[0,1] neg_hi:[0,1]
	v_pk_mul_f32 v[22:23], v[22:23], s[12:13] op_sel_hi:[1,0]
	v_mov_b32_e32 v26, v24
	v_mov_b32_e32 v27, v33
	v_mul_f32_e32 v35, 0xbf5db3d7, v32
	v_pk_add_f32 v[28:29], v[22:23], v[20:21] op_sel:[1,0] op_sel_hi:[0,1]
	v_pk_add_f32 v[30:31], v[20:21], v[22:23] op_sel:[0,1] op_sel_hi:[1,0] neg_lo:[0,1] neg_hi:[0,1]
	v_mul_f32_e32 v34, 0x3f5db3d7, v25
	v_fmac_f32_e32 v35, 0.5, v25
	v_pk_mul_f32 v[24:25], v[26:27], s[6:7]
	v_mov_b32_e32 v20, v30
	v_mov_b32_e32 v21, v29
	v_mov_b32_e32 v29, v31
	v_fmac_f32_e32 v34, 0.5, v32
	v_pk_fma_f32 v[32:33], v[26:27], 0.5, v[24:25] op_sel:[0,0,1] op_sel_hi:[1,0,0] neg_lo:[1,0,0] neg_hi:[1,0,0]
	v_pk_add_f32 v[22:23], v[10:11], v[8:9] neg_lo:[0,1] neg_hi:[0,1]
	v_pk_add_f32 v[24:25], v[28:29], v[34:35] neg_lo:[0,1] neg_hi:[0,1]
	;; [unrolled: 1-line block ×3, first 2 shown]
	s_and_saveexec_b64 s[6:7], s[0:1]
	s_cbranch_execz .LBB0_11
; %bb.10:
	v_pk_add_f32 v[8:9], v[10:11], v[8:9]
	v_and_b32_e32 v10, 0xfc, v51
	v_add_u32_e32 v10, v10, v49
	v_add_f32_e32 v29, v31, v35
	v_add_f32_e32 v28, v28, v34
	v_add_lshl_u32 v10, v45, v10, 3
	ds_write2_b64 v10, v[8:9], v[28:29] offset1:10
	v_pk_add_f32 v[8:9], v[20:21], v[32:33]
	ds_write2_b64 v10, v[8:9], v[22:23] offset0:20 offset1:30
	ds_write2_b64 v10, v[24:25], v[26:27] offset0:40 offset1:50
.LBB0_11:
	s_or_b64 exec, exec, s[6:7]
	v_lshlrev_b32_e32 v8, 4, v37
	s_load_dwordx4 s[4:7], s[4:5], 0x0
	s_waitcnt lgkmcnt(0)
	s_barrier
	global_load_dwordx4 v[8:11], v8, s[10:11] offset:400
	ds_read2_b64 v[30:33], v48 offset1:60
	ds_read_b64 v[20:21], v48 offset:960
	v_lshl_add_u32 v47, v37, 3, v46
	s_waitcnt vmcnt(0) lgkmcnt(1)
	v_pk_mul_f32 v[28:29], v[32:33], v[8:9] op_sel:[0,1]
	v_mov_b32_e32 v34, v11
	v_pk_fma_f32 v[40:41], v[32:33], v[8:9], v[28:29] op_sel:[0,0,1] op_sel_hi:[1,1,0] neg_lo:[0,0,1] neg_hi:[0,0,1]
	v_pk_fma_f32 v[28:29], v[32:33], v[8:9], v[28:29] op_sel:[0,0,1] op_sel_hi:[1,0,0]
	s_waitcnt lgkmcnt(0)
	v_pk_mul_f32 v[32:33], v[20:21], v[34:35] op_sel_hi:[1,0]
	v_mov_b32_e32 v41, v29
	v_pk_fma_f32 v[28:29], v[20:21], v[10:11], v[32:33] op_sel:[0,0,1] op_sel_hi:[1,1,0] neg_lo:[0,0,1] neg_hi:[0,0,1]
	v_pk_fma_f32 v[20:21], v[20:21], v[10:11], v[32:33] op_sel:[0,0,1] op_sel_hi:[1,0,0]
	s_nop 0
	v_mov_b32_e32 v29, v21
	v_pk_add_f32 v[20:21], v[30:31], v[40:41]
	v_pk_add_f32 v[32:33], v[40:41], v[28:29]
	v_pk_add_f32 v[34:35], v[40:41], v[28:29] neg_lo:[0,1] neg_hi:[0,1]
	v_pk_add_f32 v[28:29], v[20:21], v[28:29]
	v_pk_fma_f32 v[20:21], -0.5, v[32:33], v[30:31] op_sel_hi:[0,1,1]
	v_pk_mul_f32 v[30:31], v[34:35], s[12:13] op_sel_hi:[1,0]
	s_nop 0
	v_pk_add_f32 v[32:33], v[20:21], v[30:31] op_sel:[0,1] op_sel_hi:[1,0]
	v_pk_add_f32 v[20:21], v[20:21], v[30:31] op_sel:[0,1] op_sel_hi:[1,0] neg_lo:[0,1] neg_hi:[0,1]
	v_mov_b32_e32 v30, v32
	v_mov_b32_e32 v31, v21
	;; [unrolled: 1-line block ×3, first 2 shown]
	ds_write2_b64 v47, v[28:29], v[30:31] offset1:60
	ds_write_b64 v47, v[20:21] offset:960
	s_waitcnt lgkmcnt(0)
	s_barrier
	s_and_saveexec_b64 s[10:11], vcc
	s_cbranch_execz .LBB0_13
; %bb.12:
	global_load_dwordx2 v[64:65], v44, s[2:3] offset:1440
	s_add_u32 s12, s2, 0x5a0
	s_addc_u32 s13, s3, 0
	global_load_dwordx2 v[66:67], v44, s[12:13] offset:144
	global_load_dwordx2 v[68:69], v44, s[12:13] offset:288
	;; [unrolled: 1-line block ×9, first 2 shown]
	ds_read2_b64 v[32:35], v47 offset1:18
	ds_read2_b64 v[40:43], v47 offset0:36 offset1:54
	ds_read2_b64 v[52:55], v47 offset0:72 offset1:90
	;; [unrolled: 1-line block ×4, first 2 shown]
	s_waitcnt vmcnt(6) lgkmcnt(3)
	v_mul_f32_e32 v86, v43, v71
	s_waitcnt vmcnt(5) lgkmcnt(2)
	v_mul_f32_e32 v87, v53, v73
	s_waitcnt vmcnt(4)
	v_mul_f32_e32 v88, v55, v75
	v_mul_f32_e32 v84, v33, v65
	;; [unrolled: 1-line block ×3, first 2 shown]
	v_fma_f32 v84, v32, v64, -v84
	v_fmac_f32_e32 v85, v33, v64
	v_mul_f32_e32 v32, v35, v67
	v_mul_f32_e32 v33, v34, v67
	;; [unrolled: 1-line block ×7, first 2 shown]
	s_waitcnt vmcnt(3) lgkmcnt(1)
	v_mul_f32_e32 v89, v57, v77
	v_mul_f32_e32 v73, v56, v77
	s_waitcnt vmcnt(2)
	v_mul_f32_e32 v90, v59, v79
	v_mul_f32_e32 v75, v58, v79
	s_waitcnt vmcnt(1) lgkmcnt(0)
	v_mul_f32_e32 v91, v61, v81
	v_mul_f32_e32 v77, v60, v81
	s_waitcnt vmcnt(0)
	v_mul_f32_e32 v81, v63, v83
	v_mul_f32_e32 v79, v62, v83
	v_fma_f32 v32, v34, v66, -v32
	v_fmac_f32_e32 v33, v35, v66
	v_fma_f32 v64, v40, v68, -v64
	v_fmac_f32_e32 v65, v41, v68
	v_fma_f32 v66, v42, v70, -v86
	v_fmac_f32_e32 v67, v43, v70
	v_fma_f32 v68, v52, v72, -v87
	v_fmac_f32_e32 v69, v53, v72
	v_fma_f32 v70, v54, v74, -v88
	v_fmac_f32_e32 v71, v55, v74
	v_fma_f32 v72, v56, v76, -v89
	v_fmac_f32_e32 v73, v57, v76
	v_fma_f32 v74, v58, v78, -v90
	v_fmac_f32_e32 v75, v59, v78
	v_fma_f32 v76, v60, v80, -v91
	v_fmac_f32_e32 v77, v61, v80
	v_fma_f32 v78, v62, v82, -v81
	v_fmac_f32_e32 v79, v63, v82
	ds_write2_b64 v47, v[84:85], v[32:33] offset1:18
	ds_write2_b64 v47, v[64:65], v[66:67] offset0:36 offset1:54
	ds_write2_b64 v47, v[68:69], v[70:71] offset0:72 offset1:90
	;; [unrolled: 1-line block ×4, first 2 shown]
.LBB0_13:
	s_or_b64 exec, exec, s[10:11]
	s_waitcnt lgkmcnt(0)
	s_barrier
	s_and_saveexec_b64 s[10:11], vcc
	s_cbranch_execz .LBB0_15
; %bb.14:
	ds_read2_b64 v[28:31], v47 offset1:18
	ds_read2_b64 v[20:23], v47 offset0:36 offset1:54
	ds_read2_b64 v[24:27], v47 offset0:72 offset1:90
	;; [unrolled: 1-line block ×4, first 2 shown]
.LBB0_15:
	s_or_b64 exec, exec, s[10:11]
	s_waitcnt lgkmcnt(2)
	v_mov_b32_e32 v42, v26
	s_waitcnt lgkmcnt(1)
	v_mov_b32_e32 v43, v14
	v_mov_b32_e32 v52, v22
	s_waitcnt lgkmcnt(0)
	v_mov_b32_e32 v53, v18
	v_pk_add_f32 v[40:41], v[22:23], v[18:19]
	v_mov_b32_e32 v76, v30
	v_pk_add_f32 v[42:43], v[42:43], v[52:53] neg_lo:[0,1] neg_hi:[0,1]
	v_fmac_f32_e32 v76, -0.5, v40
	v_mov_b32_e32 v40, v43
	v_mov_b32_e32 v77, v31
	v_pk_add_f32 v[42:43], v[42:43], v[40:41]
	v_fmac_f32_e32 v77, -0.5, v41
	v_pk_add_f32 v[40:41], v[24:25], v[12:13]
	v_pk_add_f32 v[56:57], v[20:21], v[16:17] neg_lo:[0,1] neg_hi:[0,1]
	s_mov_b32 s12, 0x3f737871
	v_pk_add_f32 v[32:33], v[28:29], v[20:21]
	v_pk_fma_f32 v[40:41], v[40:41], 0.5, v[28:29] op_sel_hi:[1,0,1] neg_lo:[1,0,0] neg_hi:[1,0,0]
	v_pk_mul_f32 v[58:59], v[56:57], s[12:13] op_sel_hi:[1,0]
	v_pk_add_f32 v[60:61], v[24:25], v[12:13] neg_lo:[0,1] neg_hi:[0,1]
	s_mov_b32 s10, 0x3f167918
	v_pk_add_f32 v[64:65], v[20:21], v[24:25] neg_lo:[0,1] neg_hi:[0,1]
	v_pk_add_f32 v[66:67], v[16:17], v[12:13] neg_lo:[0,1] neg_hi:[0,1]
	v_pk_add_f32 v[32:33], v[32:33], v[24:25]
	v_pk_mul_f32 v[62:63], v[60:61], s[10:11] op_sel_hi:[1,0]
	v_pk_add_f32 v[64:65], v[64:65], v[66:67]
	v_pk_add_f32 v[66:67], v[40:41], v[58:59] op_sel:[0,1] op_sel_hi:[1,0] neg_lo:[0,1] neg_hi:[0,1]
	v_pk_add_f32 v[40:41], v[40:41], v[58:59] op_sel:[0,1] op_sel_hi:[1,0]
	v_pk_add_f32 v[34:35], v[30:31], v[22:23]
	v_pk_add_f32 v[32:33], v[32:33], v[12:13]
	v_pk_add_f32 v[58:59], v[40:41], v[62:63] op_sel:[0,1] op_sel_hi:[1,0]
	v_pk_add_f32 v[62:63], v[66:67], v[62:63] op_sel:[0,1] op_sel_hi:[1,0] neg_lo:[0,1] neg_hi:[0,1]
	v_pk_add_f32 v[66:67], v[26:27], v[14:15]
	v_pk_add_f32 v[52:53], v[32:33], v[16:17]
	;; [unrolled: 1-line block ×3, first 2 shown]
	v_pk_fma_f32 v[30:31], v[66:67], 0.5, v[30:31] op_sel_hi:[1,0,1] neg_lo:[1,0,0] neg_hi:[1,0,0]
	v_pk_add_f32 v[66:67], v[22:23], v[18:19] neg_lo:[0,1] neg_hi:[0,1]
	v_pk_add_f32 v[32:33], v[32:33], v[14:15]
	v_pk_mul_f32 v[68:69], v[66:67], s[12:13] op_sel_hi:[1,0]
	v_pk_add_f32 v[72:73], v[26:27], v[14:15] neg_lo:[0,1] neg_hi:[0,1]
	v_pk_add_f32 v[54:55], v[32:33], v[18:19]
	v_mov_b32_e32 v33, v15
	v_mov_b32_e32 v34, v23
	v_pk_add_f32 v[70:71], v[30:31], v[68:69] op_sel:[0,1] op_sel_hi:[1,0]
	v_pk_mul_f32 v[74:75], v[72:73], s[10:11] op_sel_hi:[1,0]
	v_pk_add_f32 v[22:23], v[22:23], v[26:27] neg_lo:[0,1] neg_hi:[0,1]
	v_pk_add_f32 v[14:15], v[18:19], v[14:15] neg_lo:[0,1] neg_hi:[0,1]
	s_mov_b32 s14, 0x3e9e377a
	v_mov_b32_e32 v40, v62
	v_mov_b32_e32 v41, v59
	v_pk_add_f32 v[70:71], v[74:75], v[70:71] op_sel:[1,0] op_sel_hi:[0,1]
	v_pk_add_f32 v[14:15], v[22:23], v[14:15]
	v_mov_b32_e32 v35, v19
	v_pk_fma_f32 v[40:41], v[64:65], s[14:15], v[40:41] op_sel_hi:[1,0,1]
	v_pk_fma_f32 v[18:19], v[14:15], s[14:15], v[70:71] op_sel_hi:[1,0,1]
	v_mov_b32_e32 v43, v67
	s_mov_b32 s15, s10
	v_mov_b32_e32 v32, v27
	v_fmamk_f32 v26, v73, 0x3f737871, v76
	v_pk_mul_f32 v[22:23], v[42:43], s[14:15]
	v_fmac_f32_e32 v76, 0xbf737871, v73
	v_pk_add_f32 v[32:33], v[32:33], v[34:35] neg_lo:[0,1] neg_hi:[0,1]
	v_sub_f32_e32 v26, v26, v23
	v_add_f32_e32 v23, v23, v76
	v_mov_b32_e32 v34, v33
	v_add_f32_e32 v42, v22, v26
	v_add_f32_e32 v62, v22, v23
	v_pk_add_f32 v[22:23], v[30:31], v[68:69] op_sel:[0,1] op_sel_hi:[1,0] neg_lo:[0,1] neg_hi:[0,1]
	v_pk_add_f32 v[34:35], v[32:33], v[34:35]
	v_pk_add_f32 v[22:23], v[22:23], v[74:75] op_sel:[0,1] op_sel_hi:[1,0] neg_lo:[0,1] neg_hi:[0,1]
	v_mov_b32_e32 v35, v66
	v_mov_b32_e32 v70, v22
	v_pk_fma_f32 v[26:27], v[14:15], s[14:15], v[70:71] op_sel_hi:[1,0,1]
	v_pk_fma_f32 v[68:69], v[14:15], s[14:15], v[22:23] op_sel_hi:[1,0,1]
	v_fmamk_f32 v22, v72, 0xbf737871, v77
	v_pk_mul_f32 v[14:15], v[34:35], s[14:15]
	v_pk_mul_f32 v[34:35], v[26:27], s[10:11] op_sel_hi:[1,0]
	v_add_f32_e32 v22, v15, v22
	s_mov_b32 s16, 0x3f4f1bbd
	v_add_f32_e32 v30, v14, v22
	v_pk_fma_f32 v[22:23], v[26:27], s[16:17], v[34:35] op_sel:[0,0,1] op_sel_hi:[1,0,0] neg_lo:[0,0,1] neg_hi:[0,0,1]
	v_pk_fma_f32 v[26:27], v[26:27], s[16:17], v[34:35] op_sel:[0,0,1] op_sel_hi:[1,0,0]
	v_pk_add_f32 v[12:13], v[12:13], v[16:17] neg_lo:[0,1] neg_hi:[0,1]
	v_mov_b32_e32 v23, v27
	v_pk_add_f32 v[26:27], v[20:21], v[16:17]
	v_pk_add_f32 v[20:21], v[24:25], v[20:21] neg_lo:[0,1] neg_hi:[0,1]
	v_pk_fma_f32 v[26:27], v[26:27], 0.5, v[28:29] op_sel_hi:[1,0,1] neg_lo:[1,0,0] neg_hi:[1,0,0]
	v_pk_add_f32 v[16:17], v[20:21], v[12:13]
	v_pk_mul_f32 v[12:13], v[60:61], s[12:13] op_sel_hi:[1,0]
	v_fmac_f32_e32 v77, 0x3f737871, v72
	v_pk_mul_f32 v[20:21], v[56:57], s[10:11] op_sel_hi:[1,0]
	v_pk_add_f32 v[24:25], v[26:27], v[12:13] op_sel:[0,1] op_sel_hi:[1,0]
	v_pk_add_f32 v[12:13], v[26:27], v[12:13] op_sel:[0,1] op_sel_hi:[1,0] neg_lo:[0,1] neg_hi:[0,1]
	v_sub_f32_e32 v15, v77, v15
	v_pk_add_f32 v[28:29], v[12:13], v[20:21] op_sel:[0,1] op_sel_hi:[1,0]
	v_pk_add_f32 v[24:25], v[24:25], v[20:21] op_sel:[0,1] op_sel_hi:[1,0] neg_lo:[0,1] neg_hi:[0,1]
	v_add_f32_e32 v14, v14, v15
	v_mov_b32_e32 v12, v24
	v_mov_b32_e32 v13, v29
	s_mov_b32 s13, s14
	v_pk_fma_f32 v[20:21], v[16:17], s[14:15], v[12:13] op_sel_hi:[1,0,1]
	s_mov_b32 s15, s12
	v_pk_mul_f32 v[12:13], v[30:31], s[12:13] op_sel_hi:[0,1]
	s_mov_b32 s17, s12
	v_pk_mul_f32 v[14:15], v[14:15], s[12:13] op_sel_hi:[0,1]
	s_mov_b32 s12, 0xbf4f1bbd
	v_mov_b32_e32 v29, v25
	s_mov_b32 s13, s10
	s_mov_b32 s10, 0xbf167918
	;; [unrolled: 1-line block ×3, first 2 shown]
	v_pk_fma_f32 v[26:27], v[42:43], s[14:15], v[12:13] neg_lo:[0,0,1] neg_hi:[0,0,1]
	v_pk_fma_f32 v[12:13], v[42:43], s[14:15], v[12:13] op_sel_hi:[0,1,1]
	v_pk_fma_f32 v[24:25], v[16:17], s[14:15], v[28:29] op_sel_hi:[1,0,1]
	s_mov_b32 s16, 0xbe9e377a
	v_mov_b32_e32 v59, v63
	v_pk_mul_f32 v[16:17], v[68:69], s[10:11] op_sel:[1,0]
	v_mov_b32_e32 v27, v13
	v_pk_fma_f32 v[28:29], v[62:63], s[16:17], v[14:15] op_sel_hi:[0,1,1] neg_lo:[0,0,1] neg_hi:[0,0,1]
	v_pk_fma_f32 v[30:31], v[64:65], s[14:15], v[58:59] op_sel_hi:[1,0,1]
	v_pk_fma_f32 v[42:43], v[18:19], s[12:13], v[16:17] op_sel_hi:[0,1,1]
	v_pk_add_f32 v[32:33], v[52:53], v[54:55]
	v_pk_add_f32 v[34:35], v[40:41], v[22:23]
	;; [unrolled: 1-line block ×5, first 2 shown]
	v_pk_add_f32 v[18:19], v[52:53], v[54:55] neg_lo:[0,1] neg_hi:[0,1]
	s_barrier
	s_and_saveexec_b64 s[10:11], vcc
	s_cbranch_execz .LBB0_17
; %bb.16:
	v_lshl_add_u32 v50, v50, 3, v46
	v_pk_add_f32 v[52:53], v[40:41], v[22:23] neg_lo:[0,1] neg_hi:[0,1]
	v_pk_add_f32 v[54:55], v[20:21], v[26:27] neg_lo:[0,1] neg_hi:[0,1]
	;; [unrolled: 1-line block ×4, first 2 shown]
	ds_write_b128 v50, v[32:35]
	ds_write_b128 v50, v[12:15] offset:16
	ds_write_b128 v50, v[16:19] offset:32
	;; [unrolled: 1-line block ×4, first 2 shown]
.LBB0_17:
	s_or_b64 exec, exec, s[10:11]
	s_waitcnt lgkmcnt(0)
	s_barrier
	s_and_saveexec_b64 s[10:11], s[0:1]
	s_cbranch_execz .LBB0_19
; %bb.18:
	ds_read2_b64 v[32:35], v48 offset1:30
	ds_read2_b64 v[12:15], v48 offset0:60 offset1:90
	ds_read2_b64 v[16:19], v48 offset0:120 offset1:150
.LBB0_19:
	s_or_b64 exec, exec, s[10:11]
	v_mov_b32_e32 v22, v8
	v_mov_b32_e32 v23, v8
	;; [unrolled: 1-line block ×6, first 2 shown]
	s_waitcnt lgkmcnt(0)
	s_barrier
	s_and_saveexec_b64 s[10:11], s[0:1]
	s_cbranch_execz .LBB0_21
; %bb.20:
	v_and_b32_e32 v42, 0xfc, v51
	v_pk_mul_f32 v[24:25], v[2:3], v[12:13] op_sel:[0,1]
	v_add_u32_e32 v42, v42, v49
	v_pk_mul_f32 v[26:27], v[6:7], v[16:17] op_sel:[0,1]
	v_lshl_add_u32 v46, v42, 3, v46
	v_pk_fma_f32 v[42:43], v[2:3], v[12:13], v[24:25] op_sel:[0,0,1] op_sel_hi:[1,1,0]
	v_pk_fma_f32 v[2:3], v[2:3], v[12:13], v[24:25] op_sel:[0,0,1] op_sel_hi:[1,0,0] neg_lo:[1,0,0] neg_hi:[1,0,0]
	v_pk_mul_f32 v[30:31], v[4:5], v[14:15] op_sel:[0,1]
	v_mov_b32_e32 v43, v3
	v_pk_fma_f32 v[2:3], v[6:7], v[16:17], v[26:27] op_sel:[0,0,1] op_sel_hi:[1,1,0]
	v_pk_fma_f32 v[6:7], v[6:7], v[16:17], v[26:27] op_sel:[0,0,1] op_sel_hi:[1,0,0] neg_lo:[1,0,0] neg_hi:[1,0,0]
	v_pk_mul_f32 v[40:41], v[38:39], v[18:19] op_sel:[0,1]
	v_mov_b32_e32 v3, v7
	;; [unrolled: 4-line block ×3, first 2 shown]
	v_pk_fma_f32 v[4:5], v[38:39], v[18:19], v[40:41] op_sel:[0,0,1] op_sel_hi:[1,1,0]
	v_pk_fma_f32 v[12:13], v[38:39], v[18:19], v[40:41] op_sel:[0,0,1] op_sel_hi:[1,0,0] neg_lo:[1,0,0] neg_hi:[1,0,0]
	v_pk_fma_f32 v[14:15], v[0:1], v[34:35], v[28:29] op_sel:[0,0,1] op_sel_hi:[1,0,0]
	v_mov_b32_e32 v5, v13
	v_pk_fma_f32 v[0:1], v[0:1], v[34:35], v[28:29] op_sel:[0,0,1] op_sel_hi:[1,0,0] neg_lo:[1,0,0] neg_hi:[1,0,0]
	v_pk_add_f32 v[12:13], v[6:7], v[4:5]
	v_mov_b32_e32 v0, v14
	v_mov_b32_e32 v15, v1
	v_fmac_f32_e32 v0, -0.5, v12
	v_pk_add_f32 v[16:17], v[6:7], v[4:5] neg_lo:[0,1] neg_hi:[0,1]
	v_fmac_f32_e32 v1, -0.5, v13
	v_fmamk_f32 v12, v17, 0x3f5db3d7, v0
	v_fmamk_f32 v18, v16, 0xbf5db3d7, v1
	v_fmac_f32_e32 v0, 0xbf5db3d7, v17
	v_fmac_f32_e32 v1, 0x3f5db3d7, v16
	v_pk_add_f32 v[16:17], v[32:33], v[42:43]
	s_mov_b32 s12, 0x3f5db3d7
	v_pk_add_f32 v[16:17], v[16:17], v[2:3]
	v_pk_add_f32 v[6:7], v[14:15], v[6:7]
	;; [unrolled: 1-line block ×3, first 2 shown]
	v_pk_add_f32 v[2:3], v[42:43], v[2:3] neg_lo:[0,1] neg_hi:[0,1]
	v_pk_fma_f32 v[14:15], -0.5, v[14:15], v[32:33] op_sel_hi:[0,1,1]
	v_pk_mul_f32 v[2:3], v[2:3], s[12:13] op_sel_hi:[1,0]
	s_mov_b32 s14, 0.5
	v_pk_add_f32 v[24:25], v[14:15], v[2:3] op_sel:[0,1] op_sel_hi:[1,0] neg_lo:[0,1] neg_hi:[0,1]
	v_pk_add_f32 v[2:3], v[14:15], v[2:3] op_sel:[0,1] op_sel_hi:[1,0]
	v_mov_b32_e32 v14, v24
	v_mov_b32_e32 v24, v1
	s_mov_b32 s13, s14
	s_mov_b32 s15, s12
	v_pk_mul_f32 v[26:27], v[24:25], s[12:13] op_sel_hi:[0,1]
	v_pk_fma_f32 v[28:29], v[0:1], s[14:15], v[26:27] neg_lo:[0,0,1] neg_hi:[0,0,1]
	v_pk_fma_f32 v[0:1], v[0:1], s[14:15], v[26:27] op_sel_hi:[0,1,1]
	v_pk_add_f32 v[4:5], v[6:7], v[4:5]
	v_mov_b32_e32 v15, v3
	v_mov_b32_e32 v29, v1
	v_pk_add_f32 v[6:7], v[16:17], v[4:5]
	v_pk_add_f32 v[0:1], v[14:15], v[28:29]
	s_mov_b32 s0, -0.5
	ds_write2_b64 v46, v[6:7], v[0:1] offset1:10
	s_mov_b32 s1, s12
	v_pk_mul_f32 v[0:1], v[18:19], s[12:13] op_sel_hi:[0,1]
	v_pk_fma_f32 v[0:1], v[12:13], s[0:1], v[0:1] op_sel_hi:[0,1,1] neg_lo:[0,0,1] neg_hi:[0,0,1]
	v_mov_b32_e32 v3, v25
	v_pk_add_f32 v[6:7], v[2:3], v[0:1]
	v_pk_add_f32 v[4:5], v[16:17], v[4:5] neg_lo:[0,1] neg_hi:[0,1]
	ds_write2_b64 v46, v[6:7], v[4:5] offset0:20 offset1:30
	v_pk_add_f32 v[4:5], v[14:15], v[28:29] neg_lo:[0,1] neg_hi:[0,1]
	v_pk_add_f32 v[0:1], v[2:3], v[0:1] neg_lo:[0,1] neg_hi:[0,1]
	ds_write2_b64 v46, v[4:5], v[0:1] offset0:40 offset1:50
.LBB0_21:
	s_or_b64 exec, exec, s[10:11]
	s_waitcnt lgkmcnt(0)
	s_barrier
	ds_read2_b64 v[0:3], v48 offset1:60
	ds_read_b64 v[4:5], v48 offset:960
	s_mov_b32 s0, 0x3f5db3d7
	s_waitcnt lgkmcnt(1)
	v_pk_mul_f32 v[6:7], v[8:9], v[2:3]
	s_nop 0
	v_pk_fma_f32 v[8:9], v[22:23], v[2:3], v[6:7] op_sel:[0,0,1] op_sel_hi:[1,1,0]
	v_pk_fma_f32 v[2:3], v[22:23], v[2:3], v[6:7] op_sel:[0,0,1] op_sel_hi:[1,1,0] neg_lo:[0,0,1] neg_hi:[0,0,1]
	s_nop 0
	v_mov_b32_e32 v9, v3
	s_waitcnt lgkmcnt(0)
	v_pk_mul_f32 v[2:3], v[10:11], v[4:5]
	s_nop 0
	v_pk_fma_f32 v[6:7], v[20:21], v[4:5], v[2:3] op_sel:[0,0,1] op_sel_hi:[1,1,0]
	v_pk_fma_f32 v[2:3], v[20:21], v[4:5], v[2:3] op_sel:[0,0,1] op_sel_hi:[1,1,0] neg_lo:[0,0,1] neg_hi:[0,0,1]
	s_nop 0
	v_mov_b32_e32 v7, v3
	v_pk_add_f32 v[4:5], v[8:9], v[6:7]
	v_pk_add_f32 v[2:3], v[0:1], v[8:9]
	v_pk_fma_f32 v[0:1], -0.5, v[4:5], v[0:1] op_sel_hi:[0,1,1]
	v_pk_add_f32 v[4:5], v[8:9], v[6:7] neg_lo:[0,1] neg_hi:[0,1]
	v_pk_add_f32 v[2:3], v[2:3], v[6:7]
	v_pk_mul_f32 v[4:5], v[4:5], s[0:1] op_sel_hi:[1,0]
	s_nop 0
	v_pk_add_f32 v[6:7], v[0:1], v[4:5] op_sel:[0,1] op_sel_hi:[1,0] neg_lo:[0,1] neg_hi:[0,1]
	v_pk_add_f32 v[0:1], v[0:1], v[4:5] op_sel:[0,1] op_sel_hi:[1,0]
	v_mov_b32_e32 v4, v6
	v_mov_b32_e32 v5, v1
	;; [unrolled: 1-line block ×3, first 2 shown]
	ds_write2_b64 v47, v[2:3], v[4:5] offset1:60
	ds_write_b64 v47, v[0:1] offset:960
	s_waitcnt lgkmcnt(0)
	s_barrier
	s_and_b64 exec, exec, vcc
	s_cbranch_execz .LBB0_23
; %bb.22:
	global_load_dwordx2 v[8:9], v44, s[2:3]
	global_load_dwordx2 v[10:11], v44, s[2:3] offset:144
	global_load_dwordx2 v[12:13], v44, s[2:3] offset:288
	;; [unrolled: 1-line block ×9, first 2 shown]
	v_lshl_add_u32 v39, v45, 3, v44
	v_mad_u64_u32 v[18:19], s[0:1], s6, v36, 0
	ds_read2_b64 v[0:3], v39 offset0:18 offset1:36
	ds_read2_b64 v[4:7], v39 offset0:54 offset1:72
	ds_read_b64 v[40:41], v47
	ds_read_b64 v[42:43], v39 offset:1296
	v_mov_b32_e32 v16, s8
	v_mov_b32_e32 v17, s9
	v_mad_u64_u32 v[22:23], s[8:9], s4, v37, 0
	v_mov_b32_e32 v34, v19
	v_mov_b32_e32 v38, v23
	v_mad_u64_u32 v[34:35], s[2:3], s7, v36, v[34:35]
	v_mad_u64_u32 v[36:37], s[2:3], s5, v37, v[38:39]
	v_mov_b32_e32 v19, v34
	v_mov_b32_e32 v23, v36
	v_lshl_add_u64 v[16:17], v[18:19], 3, v[16:17]
	s_mov_b32 s0, 0x16c16c17
	v_mov_b32_e32 v45, 0x90
	v_lshl_add_u64 v[16:17], v[22:23], 3, v[16:17]
	s_mov_b32 s1, 0x3f76c16c
	s_mul_i32 s6, s5, 0x90
	v_mad_u64_u32 v[18:19], s[2:3], s4, v45, v[16:17]
	v_add_u32_e32 v19, s6, v19
	v_mad_u64_u32 v[22:23], s[2:3], s4, v45, v[18:19]
	v_add_u32_e32 v23, s6, v23
	;; [unrolled: 2-line block ×3, first 2 shown]
	s_waitcnt vmcnt(9) lgkmcnt(1)
	v_mul_f32_e32 v36, v41, v9
	v_mul_f32_e32 v9, v40, v9
	s_waitcnt vmcnt(8)
	v_mul_f32_e32 v37, v1, v11
	v_mul_f32_e32 v11, v0, v11
	s_waitcnt vmcnt(7)
	v_mul_f32_e32 v38, v3, v13
	v_mul_f32_e32 v13, v2, v13
	v_fmac_f32_e32 v36, v40, v8
	v_fma_f32 v8, v8, v41, -v9
	s_waitcnt vmcnt(6)
	v_mul_f32_e32 v44, v5, v15
	v_mul_f32_e32 v15, v4, v15
	v_fmac_f32_e32 v37, v0, v10
	v_fma_f32 v9, v10, v1, -v11
	v_fmac_f32_e32 v38, v2, v12
	v_fma_f32 v12, v12, v3, -v13
	v_cvt_f64_f32_e32 v[0:1], v36
	v_cvt_f64_f32_e32 v[2:3], v8
	v_fmac_f32_e32 v44, v4, v14
	v_fma_f32 v40, v14, v5, -v15
	v_cvt_f64_f32_e32 v[4:5], v37
	v_cvt_f64_f32_e32 v[8:9], v9
	;; [unrolled: 1-line block ×4, first 2 shown]
	v_mul_f64 v[0:1], v[0:1], s[0:1]
	v_mul_f64 v[2:3], v[2:3], s[0:1]
	;; [unrolled: 1-line block ×6, first 2 shown]
	v_cvt_f32_f64_e32 v0, v[0:1]
	v_cvt_f32_f64_e32 v1, v[2:3]
	;; [unrolled: 1-line block ×6, first 2 shown]
	global_store_dwordx2 v[16:17], v[0:1], off
	global_store_dwordx2 v[18:19], v[2:3], off
	;; [unrolled: 1-line block ×3, first 2 shown]
	s_waitcnt vmcnt(8)
	v_mul_f32_e32 v0, v7, v21
	v_fmac_f32_e32 v0, v6, v20
	v_cvt_f64_f32_e32 v[0:1], v0
	v_mul_f64 v[0:1], v[0:1], s[0:1]
	v_cvt_f32_f64_e32 v4, v[0:1]
	v_mul_f32_e32 v0, v6, v21
	v_fma_f32 v0, v20, v7, -v0
	v_cvt_f64_f32_e32 v[0:1], v0
	v_mul_f64 v[0:1], v[0:1], s[0:1]
	v_cvt_f32_f64_e32 v5, v[0:1]
	ds_read2_b64 v[0:3], v39 offset0:90 offset1:108
	v_cvt_f64_f32_e32 v[14:15], v44
	v_cvt_f64_f32_e32 v[36:37], v40
	v_mul_f64 v[14:15], v[14:15], s[0:1]
	v_mul_f64 v[36:37], v[36:37], s[0:1]
	v_mad_u64_u32 v[6:7], s[2:3], s4, v45, v[34:35]
	v_cvt_f32_f64_e32 v8, v[14:15]
	v_cvt_f32_f64_e32 v9, v[36:37]
	v_add_u32_e32 v7, s6, v7
	global_store_dwordx2 v[34:35], v[8:9], off
	global_store_dwordx2 v[6:7], v[4:5], off
	s_waitcnt vmcnt(9) lgkmcnt(0)
	v_mul_f32_e32 v4, v1, v25
	v_fmac_f32_e32 v4, v0, v24
	v_mul_f32_e32 v0, v0, v25
	v_fma_f32 v0, v24, v1, -v0
	v_cvt_f64_f32_e32 v[4:5], v4
	v_cvt_f64_f32_e32 v[0:1], v0
	v_mul_f64 v[4:5], v[4:5], s[0:1]
	v_mul_f64 v[0:1], v[0:1], s[0:1]
	v_cvt_f32_f64_e32 v4, v[4:5]
	v_cvt_f32_f64_e32 v5, v[0:1]
	s_waitcnt vmcnt(8)
	v_mul_f32_e32 v0, v3, v27
	v_fmac_f32_e32 v0, v2, v26
	v_mad_u64_u32 v[6:7], s[2:3], s4, v45, v[6:7]
	v_cvt_f64_f32_e32 v[0:1], v0
	v_add_u32_e32 v7, s6, v7
	v_mul_f64 v[0:1], v[0:1], s[0:1]
	global_store_dwordx2 v[6:7], v[4:5], off
	v_cvt_f32_f64_e32 v4, v[0:1]
	v_mul_f32_e32 v0, v2, v27
	v_fma_f32 v0, v26, v3, -v0
	v_cvt_f64_f32_e32 v[0:1], v0
	v_mul_f64 v[0:1], v[0:1], s[0:1]
	v_cvt_f32_f64_e32 v5, v[0:1]
	ds_read2_b64 v[0:3], v39 offset0:126 offset1:144
	v_mad_u64_u32 v[6:7], s[2:3], s4, v45, v[6:7]
	v_add_u32_e32 v7, s6, v7
	global_store_dwordx2 v[6:7], v[4:5], off
	s_waitcnt vmcnt(9) lgkmcnt(0)
	v_mul_f32_e32 v4, v1, v29
	v_fmac_f32_e32 v4, v0, v28
	v_mul_f32_e32 v0, v0, v29
	v_fma_f32 v0, v28, v1, -v0
	v_cvt_f64_f32_e32 v[4:5], v4
	v_cvt_f64_f32_e32 v[0:1], v0
	v_mul_f64 v[4:5], v[4:5], s[0:1]
	v_mul_f64 v[0:1], v[0:1], s[0:1]
	v_cvt_f32_f64_e32 v4, v[4:5]
	v_cvt_f32_f64_e32 v5, v[0:1]
	v_mad_u64_u32 v[0:1], s[2:3], s4, v45, v[6:7]
	v_add_u32_e32 v1, s6, v1
	global_store_dwordx2 v[0:1], v[4:5], off
	s_waitcnt vmcnt(9)
	v_mul_f32_e32 v4, v3, v31
	v_fmac_f32_e32 v4, v2, v30
	v_mul_f32_e32 v2, v2, v31
	v_fma_f32 v2, v30, v3, -v2
	v_cvt_f64_f32_e32 v[4:5], v4
	v_cvt_f64_f32_e32 v[2:3], v2
	v_mul_f64 v[4:5], v[4:5], s[0:1]
	v_mul_f64 v[2:3], v[2:3], s[0:1]
	v_cvt_f32_f64_e32 v4, v[4:5]
	v_cvt_f32_f64_e32 v5, v[2:3]
	s_waitcnt vmcnt(8)
	v_mul_f32_e32 v2, v43, v33
	v_fmac_f32_e32 v2, v42, v32
	v_cvt_f64_f32_e32 v[2:3], v2
	v_mul_f64 v[2:3], v[2:3], s[0:1]
	v_mad_u64_u32 v[0:1], s[2:3], s4, v45, v[0:1]
	v_cvt_f32_f64_e32 v2, v[2:3]
	v_mul_f32_e32 v3, v42, v33
	v_add_u32_e32 v1, s6, v1
	v_fma_f32 v3, v32, v43, -v3
	global_store_dwordx2 v[0:1], v[4:5], off
	v_cvt_f64_f32_e32 v[4:5], v3
	v_mul_f64 v[4:5], v[4:5], s[0:1]
	v_mad_u64_u32 v[0:1], s[0:1], s4, v45, v[0:1]
	v_cvt_f32_f64_e32 v3, v[4:5]
	v_add_u32_e32 v1, s6, v1
	global_store_dwordx2 v[0:1], v[2:3], off
.LBB0_23:
	s_endpgm
	.section	.rodata,"a",@progbits
	.p2align	6, 0x0
	.amdhsa_kernel bluestein_single_back_len180_dim1_sp_op_CI_CI
		.amdhsa_group_segment_fixed_size 5760
		.amdhsa_private_segment_fixed_size 0
		.amdhsa_kernarg_size 104
		.amdhsa_user_sgpr_count 2
		.amdhsa_user_sgpr_dispatch_ptr 0
		.amdhsa_user_sgpr_queue_ptr 0
		.amdhsa_user_sgpr_kernarg_segment_ptr 1
		.amdhsa_user_sgpr_dispatch_id 0
		.amdhsa_user_sgpr_kernarg_preload_length 0
		.amdhsa_user_sgpr_kernarg_preload_offset 0
		.amdhsa_user_sgpr_private_segment_size 0
		.amdhsa_uses_dynamic_stack 0
		.amdhsa_enable_private_segment 0
		.amdhsa_system_sgpr_workgroup_id_x 1
		.amdhsa_system_sgpr_workgroup_id_y 0
		.amdhsa_system_sgpr_workgroup_id_z 0
		.amdhsa_system_sgpr_workgroup_info 0
		.amdhsa_system_vgpr_workitem_id 0
		.amdhsa_next_free_vgpr 92
		.amdhsa_next_free_sgpr 18
		.amdhsa_accum_offset 92
		.amdhsa_reserve_vcc 1
		.amdhsa_float_round_mode_32 0
		.amdhsa_float_round_mode_16_64 0
		.amdhsa_float_denorm_mode_32 3
		.amdhsa_float_denorm_mode_16_64 3
		.amdhsa_dx10_clamp 1
		.amdhsa_ieee_mode 1
		.amdhsa_fp16_overflow 0
		.amdhsa_tg_split 0
		.amdhsa_exception_fp_ieee_invalid_op 0
		.amdhsa_exception_fp_denorm_src 0
		.amdhsa_exception_fp_ieee_div_zero 0
		.amdhsa_exception_fp_ieee_overflow 0
		.amdhsa_exception_fp_ieee_underflow 0
		.amdhsa_exception_fp_ieee_inexact 0
		.amdhsa_exception_int_div_zero 0
	.end_amdhsa_kernel
	.text
.Lfunc_end0:
	.size	bluestein_single_back_len180_dim1_sp_op_CI_CI, .Lfunc_end0-bluestein_single_back_len180_dim1_sp_op_CI_CI
                                        ; -- End function
	.section	.AMDGPU.csdata,"",@progbits
; Kernel info:
; codeLenInByte = 5768
; NumSgprs: 24
; NumVgprs: 92
; NumAgprs: 0
; TotalNumVgprs: 92
; ScratchSize: 0
; MemoryBound: 0
; FloatMode: 240
; IeeeMode: 1
; LDSByteSize: 5760 bytes/workgroup (compile time only)
; SGPRBlocks: 2
; VGPRBlocks: 11
; NumSGPRsForWavesPerEU: 24
; NumVGPRsForWavesPerEU: 92
; AccumOffset: 92
; Occupancy: 5
; WaveLimiterHint : 1
; COMPUTE_PGM_RSRC2:SCRATCH_EN: 0
; COMPUTE_PGM_RSRC2:USER_SGPR: 2
; COMPUTE_PGM_RSRC2:TRAP_HANDLER: 0
; COMPUTE_PGM_RSRC2:TGID_X_EN: 1
; COMPUTE_PGM_RSRC2:TGID_Y_EN: 0
; COMPUTE_PGM_RSRC2:TGID_Z_EN: 0
; COMPUTE_PGM_RSRC2:TIDIG_COMP_CNT: 0
; COMPUTE_PGM_RSRC3_GFX90A:ACCUM_OFFSET: 22
; COMPUTE_PGM_RSRC3_GFX90A:TG_SPLIT: 0
	.text
	.p2alignl 6, 3212836864
	.fill 256, 4, 3212836864
	.type	__hip_cuid_27d7569ff6ff125,@object ; @__hip_cuid_27d7569ff6ff125
	.section	.bss,"aw",@nobits
	.globl	__hip_cuid_27d7569ff6ff125
__hip_cuid_27d7569ff6ff125:
	.byte	0                               ; 0x0
	.size	__hip_cuid_27d7569ff6ff125, 1

	.ident	"AMD clang version 19.0.0git (https://github.com/RadeonOpenCompute/llvm-project roc-6.4.0 25133 c7fe45cf4b819c5991fe208aaa96edf142730f1d)"
	.section	".note.GNU-stack","",@progbits
	.addrsig
	.addrsig_sym __hip_cuid_27d7569ff6ff125
	.amdgpu_metadata
---
amdhsa.kernels:
  - .agpr_count:     0
    .args:
      - .actual_access:  read_only
        .address_space:  global
        .offset:         0
        .size:           8
        .value_kind:     global_buffer
      - .actual_access:  read_only
        .address_space:  global
        .offset:         8
        .size:           8
        .value_kind:     global_buffer
      - .actual_access:  read_only
        .address_space:  global
        .offset:         16
        .size:           8
        .value_kind:     global_buffer
      - .actual_access:  read_only
        .address_space:  global
        .offset:         24
        .size:           8
        .value_kind:     global_buffer
      - .actual_access:  read_only
        .address_space:  global
        .offset:         32
        .size:           8
        .value_kind:     global_buffer
      - .offset:         40
        .size:           8
        .value_kind:     by_value
      - .address_space:  global
        .offset:         48
        .size:           8
        .value_kind:     global_buffer
      - .address_space:  global
        .offset:         56
        .size:           8
        .value_kind:     global_buffer
      - .address_space:  global
        .offset:         64
        .size:           8
        .value_kind:     global_buffer
      - .address_space:  global
        .offset:         72
        .size:           8
        .value_kind:     global_buffer
      - .offset:         80
        .size:           4
        .value_kind:     by_value
      - .address_space:  global
        .offset:         88
        .size:           8
        .value_kind:     global_buffer
      - .address_space:  global
        .offset:         96
        .size:           8
        .value_kind:     global_buffer
    .group_segment_fixed_size: 5760
    .kernarg_segment_align: 8
    .kernarg_segment_size: 104
    .language:       OpenCL C
    .language_version:
      - 2
      - 0
    .max_flat_workgroup_size: 240
    .name:           bluestein_single_back_len180_dim1_sp_op_CI_CI
    .private_segment_fixed_size: 0
    .sgpr_count:     24
    .sgpr_spill_count: 0
    .symbol:         bluestein_single_back_len180_dim1_sp_op_CI_CI.kd
    .uniform_work_group_size: 1
    .uses_dynamic_stack: false
    .vgpr_count:     92
    .vgpr_spill_count: 0
    .wavefront_size: 64
amdhsa.target:   amdgcn-amd-amdhsa--gfx950
amdhsa.version:
  - 1
  - 2
...

	.end_amdgpu_metadata
